;; amdgpu-corpus repo=ROCm/rocFFT kind=compiled arch=gfx906 opt=O3
	.text
	.amdgcn_target "amdgcn-amd-amdhsa--gfx906"
	.amdhsa_code_object_version 6
	.protected	fft_rtc_back_len819_factors_9_7_13_wgs_117_tpt_117_sp_ip_CI_sbrr_dirReg ; -- Begin function fft_rtc_back_len819_factors_9_7_13_wgs_117_tpt_117_sp_ip_CI_sbrr_dirReg
	.globl	fft_rtc_back_len819_factors_9_7_13_wgs_117_tpt_117_sp_ip_CI_sbrr_dirReg
	.p2align	8
	.type	fft_rtc_back_len819_factors_9_7_13_wgs_117_tpt_117_sp_ip_CI_sbrr_dirReg,@function
fft_rtc_back_len819_factors_9_7_13_wgs_117_tpt_117_sp_ip_CI_sbrr_dirReg: ; @fft_rtc_back_len819_factors_9_7_13_wgs_117_tpt_117_sp_ip_CI_sbrr_dirReg
; %bb.0:
	s_load_dwordx2 s[2:3], s[4:5], 0x18
	s_load_dwordx4 s[8:11], s[4:5], 0x0
	s_load_dwordx2 s[14:15], s[4:5], 0x50
	v_mul_u32_u24_e32 v1, 0x231, v0
	v_add_u32_sdwa v5, s6, v1 dst_sel:DWORD dst_unused:UNUSED_PAD src0_sel:DWORD src1_sel:WORD_1
	s_waitcnt lgkmcnt(0)
	s_load_dwordx2 s[12:13], s[2:3], 0x0
	v_cmp_lt_u64_e64 s[0:1], s[10:11], 2
	v_mov_b32_e32 v3, 0
	v_mov_b32_e32 v1, 0
	;; [unrolled: 1-line block ×3, first 2 shown]
	s_and_b64 vcc, exec, s[0:1]
	v_mov_b32_e32 v2, 0
	s_cbranch_vccnz .LBB0_8
; %bb.1:
	s_load_dwordx2 s[0:1], s[4:5], 0x10
	s_add_u32 s6, s2, 8
	s_addc_u32 s7, s3, 0
	v_mov_b32_e32 v1, 0
	v_mov_b32_e32 v2, 0
	s_waitcnt lgkmcnt(0)
	s_add_u32 s16, s0, 8
	s_addc_u32 s17, s1, 0
	s_mov_b64 s[18:19], 1
.LBB0_2:                                ; =>This Inner Loop Header: Depth=1
	s_load_dwordx2 s[20:21], s[16:17], 0x0
                                        ; implicit-def: $vgpr7_vgpr8
	s_waitcnt lgkmcnt(0)
	v_or_b32_e32 v4, s21, v6
	v_cmp_ne_u64_e32 vcc, 0, v[3:4]
	s_and_saveexec_b64 s[0:1], vcc
	s_xor_b64 s[22:23], exec, s[0:1]
	s_cbranch_execz .LBB0_4
; %bb.3:                                ;   in Loop: Header=BB0_2 Depth=1
	v_cvt_f32_u32_e32 v4, s20
	v_cvt_f32_u32_e32 v7, s21
	s_sub_u32 s0, 0, s20
	s_subb_u32 s1, 0, s21
	v_mac_f32_e32 v4, 0x4f800000, v7
	v_rcp_f32_e32 v4, v4
	v_mul_f32_e32 v4, 0x5f7ffffc, v4
	v_mul_f32_e32 v7, 0x2f800000, v4
	v_trunc_f32_e32 v7, v7
	v_mac_f32_e32 v4, 0xcf800000, v7
	v_cvt_u32_f32_e32 v7, v7
	v_cvt_u32_f32_e32 v4, v4
	v_mul_lo_u32 v8, s0, v7
	v_mul_hi_u32 v9, s0, v4
	v_mul_lo_u32 v11, s1, v4
	v_mul_lo_u32 v10, s0, v4
	v_add_u32_e32 v8, v9, v8
	v_add_u32_e32 v8, v8, v11
	v_mul_hi_u32 v9, v4, v10
	v_mul_lo_u32 v11, v4, v8
	v_mul_hi_u32 v13, v4, v8
	v_mul_hi_u32 v12, v7, v10
	v_mul_lo_u32 v10, v7, v10
	v_mul_hi_u32 v14, v7, v8
	v_add_co_u32_e32 v9, vcc, v9, v11
	v_addc_co_u32_e32 v11, vcc, 0, v13, vcc
	v_mul_lo_u32 v8, v7, v8
	v_add_co_u32_e32 v9, vcc, v9, v10
	v_addc_co_u32_e32 v9, vcc, v11, v12, vcc
	v_addc_co_u32_e32 v10, vcc, 0, v14, vcc
	v_add_co_u32_e32 v8, vcc, v9, v8
	v_addc_co_u32_e32 v9, vcc, 0, v10, vcc
	v_add_co_u32_e32 v4, vcc, v4, v8
	v_addc_co_u32_e32 v7, vcc, v7, v9, vcc
	v_mul_lo_u32 v8, s0, v7
	v_mul_hi_u32 v9, s0, v4
	v_mul_lo_u32 v10, s1, v4
	v_mul_lo_u32 v11, s0, v4
	v_add_u32_e32 v8, v9, v8
	v_add_u32_e32 v8, v8, v10
	v_mul_lo_u32 v12, v4, v8
	v_mul_hi_u32 v13, v4, v11
	v_mul_hi_u32 v14, v4, v8
	;; [unrolled: 1-line block ×3, first 2 shown]
	v_mul_lo_u32 v11, v7, v11
	v_mul_hi_u32 v9, v7, v8
	v_add_co_u32_e32 v12, vcc, v13, v12
	v_addc_co_u32_e32 v13, vcc, 0, v14, vcc
	v_mul_lo_u32 v8, v7, v8
	v_add_co_u32_e32 v11, vcc, v12, v11
	v_addc_co_u32_e32 v10, vcc, v13, v10, vcc
	v_addc_co_u32_e32 v9, vcc, 0, v9, vcc
	v_add_co_u32_e32 v8, vcc, v10, v8
	v_addc_co_u32_e32 v9, vcc, 0, v9, vcc
	v_add_co_u32_e32 v4, vcc, v4, v8
	v_addc_co_u32_e32 v9, vcc, v7, v9, vcc
	v_mad_u64_u32 v[7:8], s[0:1], v5, v9, 0
	v_mul_hi_u32 v10, v5, v4
	v_add_co_u32_e32 v11, vcc, v10, v7
	v_addc_co_u32_e32 v12, vcc, 0, v8, vcc
	v_mad_u64_u32 v[7:8], s[0:1], v6, v4, 0
	v_mad_u64_u32 v[9:10], s[0:1], v6, v9, 0
	v_add_co_u32_e32 v4, vcc, v11, v7
	v_addc_co_u32_e32 v4, vcc, v12, v8, vcc
	v_addc_co_u32_e32 v7, vcc, 0, v10, vcc
	v_add_co_u32_e32 v4, vcc, v4, v9
	v_addc_co_u32_e32 v9, vcc, 0, v7, vcc
	v_mul_lo_u32 v10, s21, v4
	v_mul_lo_u32 v11, s20, v9
	v_mad_u64_u32 v[7:8], s[0:1], s20, v4, 0
	v_add3_u32 v8, v8, v11, v10
	v_sub_u32_e32 v10, v6, v8
	v_mov_b32_e32 v11, s21
	v_sub_co_u32_e32 v7, vcc, v5, v7
	v_subb_co_u32_e64 v10, s[0:1], v10, v11, vcc
	v_subrev_co_u32_e64 v11, s[0:1], s20, v7
	v_subbrev_co_u32_e64 v10, s[0:1], 0, v10, s[0:1]
	v_cmp_le_u32_e64 s[0:1], s21, v10
	v_cndmask_b32_e64 v12, 0, -1, s[0:1]
	v_cmp_le_u32_e64 s[0:1], s20, v11
	v_cndmask_b32_e64 v11, 0, -1, s[0:1]
	v_cmp_eq_u32_e64 s[0:1], s21, v10
	v_cndmask_b32_e64 v10, v12, v11, s[0:1]
	v_add_co_u32_e64 v11, s[0:1], 2, v4
	v_addc_co_u32_e64 v12, s[0:1], 0, v9, s[0:1]
	v_add_co_u32_e64 v13, s[0:1], 1, v4
	v_addc_co_u32_e64 v14, s[0:1], 0, v9, s[0:1]
	v_subb_co_u32_e32 v8, vcc, v6, v8, vcc
	v_cmp_ne_u32_e64 s[0:1], 0, v10
	v_cmp_le_u32_e32 vcc, s21, v8
	v_cndmask_b32_e64 v10, v14, v12, s[0:1]
	v_cndmask_b32_e64 v12, 0, -1, vcc
	v_cmp_le_u32_e32 vcc, s20, v7
	v_cndmask_b32_e64 v7, 0, -1, vcc
	v_cmp_eq_u32_e32 vcc, s21, v8
	v_cndmask_b32_e32 v7, v12, v7, vcc
	v_cmp_ne_u32_e32 vcc, 0, v7
	v_cndmask_b32_e64 v7, v13, v11, s[0:1]
	v_cndmask_b32_e32 v8, v9, v10, vcc
	v_cndmask_b32_e32 v7, v4, v7, vcc
.LBB0_4:                                ;   in Loop: Header=BB0_2 Depth=1
	s_andn2_saveexec_b64 s[0:1], s[22:23]
	s_cbranch_execz .LBB0_6
; %bb.5:                                ;   in Loop: Header=BB0_2 Depth=1
	v_cvt_f32_u32_e32 v4, s20
	s_sub_i32 s22, 0, s20
	v_rcp_iflag_f32_e32 v4, v4
	v_mul_f32_e32 v4, 0x4f7ffffe, v4
	v_cvt_u32_f32_e32 v4, v4
	v_mul_lo_u32 v7, s22, v4
	v_mul_hi_u32 v7, v4, v7
	v_add_u32_e32 v4, v4, v7
	v_mul_hi_u32 v4, v5, v4
	v_mul_lo_u32 v7, v4, s20
	v_add_u32_e32 v8, 1, v4
	v_sub_u32_e32 v7, v5, v7
	v_subrev_u32_e32 v9, s20, v7
	v_cmp_le_u32_e32 vcc, s20, v7
	v_cndmask_b32_e32 v7, v7, v9, vcc
	v_cndmask_b32_e32 v4, v4, v8, vcc
	v_add_u32_e32 v8, 1, v4
	v_cmp_le_u32_e32 vcc, s20, v7
	v_cndmask_b32_e32 v7, v4, v8, vcc
	v_mov_b32_e32 v8, v3
.LBB0_6:                                ;   in Loop: Header=BB0_2 Depth=1
	s_or_b64 exec, exec, s[0:1]
	v_mul_lo_u32 v4, v8, s20
	v_mul_lo_u32 v11, v7, s21
	v_mad_u64_u32 v[9:10], s[0:1], v7, s20, 0
	s_load_dwordx2 s[0:1], s[6:7], 0x0
	s_add_u32 s18, s18, 1
	v_add3_u32 v4, v10, v11, v4
	v_sub_co_u32_e32 v5, vcc, v5, v9
	v_subb_co_u32_e32 v4, vcc, v6, v4, vcc
	s_waitcnt lgkmcnt(0)
	v_mul_lo_u32 v4, s0, v4
	v_mul_lo_u32 v6, s1, v5
	v_mad_u64_u32 v[1:2], s[0:1], s0, v5, v[1:2]
	s_addc_u32 s19, s19, 0
	s_add_u32 s6, s6, 8
	v_add3_u32 v2, v6, v2, v4
	v_mov_b32_e32 v4, s10
	v_mov_b32_e32 v5, s11
	s_addc_u32 s7, s7, 0
	v_cmp_ge_u64_e32 vcc, s[18:19], v[4:5]
	s_add_u32 s16, s16, 8
	s_addc_u32 s17, s17, 0
	s_cbranch_vccnz .LBB0_9
; %bb.7:                                ;   in Loop: Header=BB0_2 Depth=1
	v_mov_b32_e32 v5, v7
	v_mov_b32_e32 v6, v8
	s_branch .LBB0_2
.LBB0_8:
	v_mov_b32_e32 v8, v6
	v_mov_b32_e32 v7, v5
.LBB0_9:
	s_lshl_b64 s[0:1], s[10:11], 3
	s_add_u32 s0, s2, s0
	s_addc_u32 s1, s3, s1
	s_load_dwordx2 s[2:3], s[0:1], 0x0
	s_load_dwordx2 s[6:7], s[4:5], 0x20
	v_mov_b32_e32 v6, 0
	v_mov_b32_e32 v11, 0
	;; [unrolled: 1-line block ×3, first 2 shown]
	s_waitcnt lgkmcnt(0)
	v_mad_u64_u32 v[2:3], s[0:1], s2, v7, v[1:2]
	s_mov_b32 s0, 0x2302303
	v_mul_hi_u32 v1, v0, s0
	v_mul_lo_u32 v4, s2, v8
	v_mul_lo_u32 v5, s3, v7
	v_cmp_gt_u64_e32 vcc, s[6:7], v[7:8]
	v_mul_u32_u24_e32 v1, 0x75, v1
	v_sub_u32_e32 v52, v0, v1
	v_add3_u32 v3, v5, v3, v4
	s_movk_i32 s0, 0x5b
	v_cmp_gt_u32_e64 s[0:1], s0, v52
	v_lshlrev_b64 v[48:49], 3, v[2:3]
	s_and_b64 s[2:3], vcc, s[0:1]
	v_mov_b32_e32 v1, 0
	v_mov_b32_e32 v0, 0
	;; [unrolled: 1-line block ×5, first 2 shown]
                                        ; implicit-def: $vgpr3
                                        ; implicit-def: $vgpr9
                                        ; implicit-def: $vgpr13
                                        ; implicit-def: $vgpr17
                                        ; implicit-def: $vgpr15
	s_and_saveexec_b64 s[4:5], s[2:3]
	s_cbranch_execz .LBB0_11
; %bb.10:
	v_mad_u64_u32 v[0:1], s[2:3], s12, v52, 0
	v_add_u32_e32 v5, 0x5b, v52
	v_mov_b32_e32 v4, s15
	v_mad_u64_u32 v[1:2], s[2:3], s13, v52, v[1:2]
	v_mad_u64_u32 v[2:3], s[2:3], s12, v5, 0
	v_add_co_u32_e64 v28, s[2:3], s14, v48
	v_addc_co_u32_e64 v29, s[2:3], v4, v49, s[2:3]
	v_mad_u64_u32 v[3:4], s[2:3], s13, v5, v[3:4]
	v_add_u32_e32 v6, 0xb6, v52
	v_mad_u64_u32 v[4:5], s[2:3], s12, v6, 0
	v_lshlrev_b64 v[0:1], 3, v[0:1]
	v_add_u32_e32 v21, 0x1c7, v52
	v_add_co_u32_e64 v8, s[2:3], v28, v0
	v_addc_co_u32_e64 v9, s[2:3], v29, v1, s[2:3]
	v_lshlrev_b64 v[0:1], 3, v[2:3]
	v_mov_b32_e32 v2, v5
	v_mad_u64_u32 v[2:3], s[2:3], s13, v6, v[2:3]
	v_add_u32_e32 v3, 0x111, v52
	v_mad_u64_u32 v[6:7], s[2:3], s12, v3, 0
	v_add_co_u32_e64 v12, s[2:3], v28, v0
	v_mov_b32_e32 v5, v2
	v_mov_b32_e32 v2, v7
	v_addc_co_u32_e64 v13, s[2:3], v29, v1, s[2:3]
	v_mad_u64_u32 v[2:3], s[2:3], s13, v3, v[2:3]
	v_lshlrev_b64 v[0:1], 3, v[4:5]
	v_add_co_u32_e64 v4, s[2:3], v28, v0
	v_mov_b32_e32 v7, v2
	v_add_u32_e32 v2, 0x16c, v52
	v_addc_co_u32_e64 v5, s[2:3], v29, v1, s[2:3]
	v_mad_u64_u32 v[14:15], s[2:3], s12, v2, 0
	v_lshlrev_b64 v[0:1], 3, v[6:7]
	v_add_co_u32_e64 v16, s[2:3], v28, v0
	v_mov_b32_e32 v0, v15
	v_addc_co_u32_e64 v17, s[2:3], v29, v1, s[2:3]
	v_mad_u64_u32 v[18:19], s[2:3], s13, v2, v[0:1]
	v_mad_u64_u32 v[19:20], s[2:3], s12, v21, 0
	global_load_dwordx2 v[2:3], v[8:9], off
	global_load_dwordx2 v[0:1], v[12:13], off
	global_load_dwordx2 v[6:7], v[4:5], off
	global_load_dwordx2 v[10:11], v[16:17], off
	v_mov_b32_e32 v15, v18
	v_mov_b32_e32 v8, v20
	v_mad_u64_u32 v[8:9], s[2:3], s13, v21, v[8:9]
	v_add_u32_e32 v9, 0x222, v52
	v_mad_u64_u32 v[12:13], s[2:3], s12, v9, 0
	v_lshlrev_b64 v[4:5], 3, v[14:15]
	v_mov_b32_e32 v20, v8
	v_add_co_u32_e64 v16, s[2:3], v28, v4
	v_mov_b32_e32 v8, v13
	v_addc_co_u32_e64 v17, s[2:3], v29, v5, s[2:3]
	v_mad_u64_u32 v[8:9], s[2:3], s13, v9, v[8:9]
	v_add_u32_e32 v9, 0x27d, v52
	v_mad_u64_u32 v[14:15], s[2:3], s12, v9, 0
	v_lshlrev_b64 v[4:5], 3, v[19:20]
	v_mov_b32_e32 v13, v8
	v_add_co_u32_e64 v18, s[2:3], v28, v4
	v_mov_b32_e32 v8, v15
	v_addc_co_u32_e64 v19, s[2:3], v29, v5, s[2:3]
	v_mad_u64_u32 v[8:9], s[2:3], s13, v9, v[8:9]
	v_lshlrev_b64 v[4:5], 3, v[12:13]
	v_add_co_u32_e64 v20, s[2:3], v28, v4
	v_mov_b32_e32 v15, v8
	v_add_u32_e32 v8, 0x2d8, v52
	v_addc_co_u32_e64 v21, s[2:3], v29, v5, s[2:3]
	v_mad_u64_u32 v[22:23], s[2:3], s12, v8, 0
	v_lshlrev_b64 v[4:5], 3, v[14:15]
	v_add_co_u32_e64 v24, s[2:3], v28, v4
	v_mov_b32_e32 v4, v23
	v_addc_co_u32_e64 v25, s[2:3], v29, v5, s[2:3]
	v_mad_u64_u32 v[26:27], s[2:3], s13, v8, v[4:5]
	global_load_dwordx2 v[4:5], v[16:17], off
	global_load_dwordx2 v[8:9], v[18:19], off
	;; [unrolled: 1-line block ×4, first 2 shown]
	v_mov_b32_e32 v23, v26
	v_lshlrev_b64 v[16:17], 3, v[22:23]
	v_add_co_u32_e64 v16, s[2:3], v28, v16
	v_addc_co_u32_e64 v17, s[2:3], v29, v17, s[2:3]
	global_load_dwordx2 v[16:17], v[16:17], off
.LBB0_11:
	s_or_b64 exec, exec, s[4:5]
	s_waitcnt vmcnt(0)
	v_add_f32_e32 v21, v0, v16
	v_add_f32_e32 v23, v1, v17
	v_add_f32_e32 v22, v6, v14
	v_sub_f32_e32 v20, v0, v16
	v_sub_f32_e32 v16, v1, v17
	;; [unrolled: 1-line block ×4, first 2 shown]
	v_mov_b32_e32 v6, v2
	v_add_f32_e32 v25, v7, v15
	v_mul_f32_e32 v0, 0x3f7c1c5c, v14
	v_fmac_f32_e32 v6, 0x3f441b7d, v21
	v_mov_b32_e32 v7, v3
	v_add_f32_e32 v18, v10, v12
	v_sub_f32_e32 v27, v11, v13
	v_mul_f32_e32 v1, 0x3f7c1c5c, v17
	v_fmac_f32_e32 v0, 0x3f248dbb, v16
	v_fmac_f32_e32 v7, 0x3f441b7d, v23
	;; [unrolled: 1-line block ×3, first 2 shown]
	v_add_f32_e32 v19, v11, v13
	v_sub_f32_e32 v29, v10, v12
	v_fmac_f32_e32 v1, 0x3f248dbb, v20
	v_fmac_f32_e32 v0, 0x3f5db3d7, v27
	v_sub_f32_e32 v15, v5, v9
	v_fmac_f32_e32 v7, 0x3e31d0d4, v25
	v_fmac_f32_e32 v6, -0.5, v18
	v_add_f32_e32 v26, v4, v8
	v_fmac_f32_e32 v1, 0x3f5db3d7, v29
	v_sub_f32_e32 v24, v4, v8
	v_fmac_f32_e32 v0, 0x3eaf1d44, v15
	v_fmac_f32_e32 v7, -0.5, v19
	v_add_f32_e32 v28, v5, v9
	v_fmac_f32_e32 v6, 0xbf708fb2, v26
	v_fmac_f32_e32 v1, 0x3eaf1d44, v24
	;; [unrolled: 1-line block ×3, first 2 shown]
	v_sub_f32_e32 v10, v6, v0
	s_mov_b32 s2, 0x3f7c1c5c
	v_mul_f32_e32 v6, 0x3f248dbb, v24
	v_mov_b32_e32 v12, v2
	v_mov_b32_e32 v13, v3
	v_add_f32_e32 v11, v7, v1
	v_fma_f32 v7, v20, s2, -v6
	v_mul_f32_e32 v6, 0x3f248dbb, v15
	v_fmac_f32_e32 v12, 0x3f441b7d, v26
	v_fmac_f32_e32 v13, 0x3f441b7d, v28
	v_fma_f32 v6, v16, s2, -v6
	v_fmac_f32_e32 v12, 0x3e31d0d4, v21
	v_fmac_f32_e32 v13, 0x3e31d0d4, v23
	;; [unrolled: 1-line block ×4, first 2 shown]
	v_fmac_f32_e32 v12, -0.5, v18
	v_fmac_f32_e32 v13, -0.5, v19
	v_fmac_f32_e32 v7, 0x3eaf1d44, v17
	v_fmac_f32_e32 v6, 0x3eaf1d44, v14
	;; [unrolled: 1-line block ×4, first 2 shown]
	v_sub_f32_e32 v12, v12, v6
	v_add_f32_e32 v13, v13, v7
	v_fma_f32 v0, 2.0, v0, v10
	v_fma_f32 v1, -2.0, v1, v11
	v_fma_f32 v6, 2.0, v6, v12
	v_fma_f32 v7, -2.0, v7, v13
	s_and_saveexec_b64 s[2:3], s[0:1]
	s_cbranch_execz .LBB0_13
; %bb.12:
	v_add_f32_e32 v30, v23, v25
	v_add_f32_e32 v31, v19, v30
	;; [unrolled: 1-line block ×7, first 2 shown]
	s_mov_b32 s0, 0xbf248dbb
	v_mul_f32_e32 v5, 0x3f7c1c5c, v24
	v_add_f32_e32 v33, v8, v4
	v_mul_f32_e32 v4, 0x3f5db3d7, v29
	v_fma_f32 v5, v17, s0, -v5
	v_add_f32_e32 v8, v4, v5
	v_mov_b32_e32 v4, v3
	v_fmac_f32_e32 v4, 0x3f441b7d, v25
	v_fmac_f32_e32 v4, 0x3e31d0d4, v28
	v_mul_f32_e32 v5, 0.5, v19
	v_mul_f32_e32 v9, 0x3f7c1c5c, v15
	v_sub_f32_e32 v4, v4, v5
	v_mul_f32_e32 v5, 0x3f5db3d7, v27
	v_fma_f32 v9, v14, s0, -v9
	v_fmac_f32_e32 v4, 0xbf708fb2, v23
	v_add_f32_e32 v23, v5, v9
	v_mov_b32_e32 v5, v2
	v_fmac_f32_e32 v5, 0x3f441b7d, v22
	v_fmac_f32_e32 v5, 0x3e31d0d4, v26
	v_mul_f32_e32 v9, 0.5, v18
	v_sub_f32_e32 v9, v5, v9
	v_fmac_f32_e32 v9, 0xbf708fb2, v21
	v_fmac_f32_e32 v8, 0x3eaf1d44, v20
	;; [unrolled: 1-line block ×3, first 2 shown]
	v_add_f32_e32 v5, v8, v4
	v_sub_f32_e32 v4, v9, v23
	v_add_f32_e32 v21, v2, v33
	v_add_f32_e32 v15, v15, v16
	;; [unrolled: 1-line block ×4, first 2 shown]
	v_fma_f32 v9, -2.0, v8, v5
	v_fma_f32 v8, 2.0, v23, v4
	v_add_f32_e32 v22, v3, v32
	v_add_f32_e32 v20, v24, v20
	;; [unrolled: 1-line block ×4, first 2 shown]
	v_sub_f32_e32 v14, v15, v14
	v_fmac_f32_e32 v2, -0.5, v16
	v_sub_f32_e32 v17, v20, v17
	v_fmac_f32_e32 v3, -0.5, v23
	v_fmac_f32_e32 v2, 0xbf5db3d7, v14
	s_movk_i32 s0, 0x48
	v_mul_f32_e32 v20, 0x3f5db3d7, v17
	v_fmac_f32_e32 v3, 0x3f5db3d7, v17
	v_mul_f32_e32 v15, 0x3f5db3d7, v14
	v_mad_u32_u24 v14, v52, s0, 0
	v_mov_b32_e32 v16, v2
	v_fma_f32 v17, -2.0, v20, v3
	ds_write2_b64 v14, v[21:22], v[10:11] offset1:1
	v_fmac_f32_e32 v16, 2.0, v15
	ds_write2_b64 v14, v[12:13], v[2:3] offset0:2 offset1:3
	ds_write2_b64 v14, v[4:5], v[8:9] offset0:4 offset1:5
	;; [unrolled: 1-line block ×3, first 2 shown]
	ds_write_b64 v14, v[0:1] offset:64
.LBB0_13:
	s_or_b64 exec, exec, s[2:3]
	v_mov_b32_e32 v2, 57
	v_mul_lo_u16_sdwa v2, v52, v2 dst_sel:DWORD dst_unused:UNUSED_PAD src0_sel:BYTE_0 src1_sel:DWORD
	v_lshrrev_b16_e32 v33, 9, v2
	v_mul_lo_u16_e32 v2, 9, v33
	v_sub_u16_e32 v34, v52, v2
	v_mov_b32_e32 v2, 6
	v_mul_u32_u24_sdwa v2, v34, v2 dst_sel:DWORD dst_unused:UNUSED_PAD src0_sel:BYTE_0 src1_sel:DWORD
	v_lshlrev_b32_e32 v2, 3, v2
	s_waitcnt lgkmcnt(0)
	s_barrier
	global_load_dwordx4 v[8:11], v2, s[8:9]
	global_load_dwordx4 v[12:15], v2, s[8:9] offset:16
	global_load_dwordx4 v[16:19], v2, s[8:9] offset:32
	v_lshl_add_u32 v24, v52, 3, 0
	v_add_u32_e32 v3, 0x400, v24
	ds_read2_b64 v[20:23], v24 offset1:117
	v_add_u32_e32 v2, 0xc00, v24
	ds_read2_b64 v[25:28], v3 offset0:106 offset1:223
	ds_read_b64 v[4:5], v24 offset:5616
	ds_read2_b64 v[29:32], v2 offset0:84 offset1:201
	s_mov_b32 s1, 0x3f3bfb3b
	s_mov_b32 s0, 0xbf5ff5aa
	s_waitcnt vmcnt(0) lgkmcnt(0)
	s_barrier
	s_waitcnt lgkmcnt(0)
                                        ; implicit-def: $vgpr51
	v_mul_f32_e32 v35, v9, v23
	v_mul_f32_e32 v9, v9, v22
	;; [unrolled: 1-line block ×12, first 2 shown]
	v_fmac_f32_e32 v35, v8, v22
	v_fma_f32 v8, v8, v23, -v9
	v_fmac_f32_e32 v36, v10, v25
	v_fmac_f32_e32 v39, v16, v31
	;; [unrolled: 1-line block ×3, first 2 shown]
	v_fma_f32 v4, v18, v5, -v19
	v_fma_f32 v9, v10, v26, -v11
	v_fmac_f32_e32 v37, v12, v27
	v_fma_f32 v10, v12, v28, -v13
	v_fmac_f32_e32 v38, v14, v29
	v_fma_f32 v11, v14, v30, -v15
	v_fma_f32 v12, v16, v32, -v17
	v_add_f32_e32 v5, v35, v40
	v_add_f32_e32 v13, v8, v4
	v_sub_f32_e32 v4, v8, v4
	v_add_f32_e32 v8, v36, v39
	v_add_f32_e32 v15, v9, v12
	v_sub_f32_e32 v16, v36, v39
	v_sub_f32_e32 v9, v9, v12
	v_add_f32_e32 v12, v37, v38
	v_add_f32_e32 v17, v10, v11
	v_sub_f32_e32 v18, v38, v37
	v_sub_f32_e32 v10, v11, v10
	v_add_f32_e32 v11, v8, v5
	v_sub_f32_e32 v14, v35, v40
	v_add_f32_e32 v19, v15, v13
	v_sub_f32_e32 v22, v8, v5
	v_sub_f32_e32 v23, v15, v13
	;; [unrolled: 1-line block ×4, first 2 shown]
	v_add_f32_e32 v8, v18, v16
	v_add_f32_e32 v11, v12, v11
	v_sub_f32_e32 v5, v5, v12
	v_sub_f32_e32 v13, v13, v17
	v_add_f32_e32 v26, v10, v9
	v_sub_f32_e32 v27, v18, v16
	v_sub_f32_e32 v28, v10, v9
	;; [unrolled: 1-line block ×4, first 2 shown]
	v_add_f32_e32 v12, v17, v19
	v_add_f32_e32 v14, v8, v14
	v_mul_f32_e32 v17, 0x3d64c772, v25
	v_mul_f32_e32 v19, 0x3d64c772, v15
	v_add_f32_e32 v8, v11, v20
	v_sub_f32_e32 v10, v4, v10
	v_sub_f32_e32 v29, v9, v4
	v_add_f32_e32 v4, v26, v4
	v_mul_f32_e32 v5, 0x3f4a47b2, v5
	v_mul_f32_e32 v26, 0x3f08b237, v27
	;; [unrolled: 1-line block ×3, first 2 shown]
	v_add_f32_e32 v9, v12, v21
	v_fma_f32 v17, v22, s1, -v17
	v_fma_f32 v19, v23, s1, -v19
	v_mov_b32_e32 v20, v8
	s_mov_b32 s1, 0xbf3bfb3b
	v_mul_f32_e32 v13, 0x3f4a47b2, v13
	v_mul_f32_e32 v28, 0xbf5ff5aa, v16
	v_mov_b32_e32 v21, v9
	v_fmac_f32_e32 v20, 0xbf955555, v11
	v_fma_f32 v11, v22, s1, -v5
	v_fma_f32 v22, v16, s0, -v26
	;; [unrolled: 1-line block ×3, first 2 shown]
	s_mov_b32 s0, 0x3eae86e6
	v_mul_f32_e32 v30, 0xbf5ff5aa, v29
	v_fmac_f32_e32 v21, 0xbf955555, v12
	v_fma_f32 v12, v23, s1, -v13
	v_fmac_f32_e32 v13, 0x3d64c772, v15
	v_fma_f32 v23, v18, s0, -v28
	v_fmac_f32_e32 v5, 0x3d64c772, v25
	v_fmac_f32_e32 v26, 0xbeae86e6, v18
	v_fma_f32 v18, v10, s0, -v30
	v_add_f32_e32 v25, v13, v21
	v_add_f32_e32 v17, v17, v20
	v_add_f32_e32 v19, v19, v21
	v_add_f32_e32 v21, v12, v21
	v_fmac_f32_e32 v22, 0xbee1c552, v14
	v_fmac_f32_e32 v16, 0xbee1c552, v4
	;; [unrolled: 1-line block ×4, first 2 shown]
	v_add_f32_e32 v5, v5, v20
	v_add_f32_e32 v20, v11, v20
	v_fmac_f32_e32 v26, 0xbee1c552, v14
	v_fmac_f32_e32 v18, 0xbee1c552, v4
	v_sub_f32_e32 v13, v21, v23
	v_sub_f32_e32 v14, v17, v16
	v_add_f32_e32 v15, v22, v19
	v_add_f32_e32 v16, v16, v17
	v_sub_f32_e32 v17, v19, v22
	v_add_f32_e32 v19, v23, v21
	v_mov_b32_e32 v21, 3
	v_fmac_f32_e32 v27, 0xbee1c552, v4
	v_add_f32_e32 v12, v18, v20
	v_sub_f32_e32 v18, v20, v18
	v_mul_u32_u24_e32 v20, 0x1f8, v33
	v_lshlrev_b32_sdwa v21, v21, v34 dst_sel:DWORD dst_unused:UNUSED_PAD src0_sel:DWORD src1_sel:BYTE_0
	v_add_f32_e32 v10, v27, v5
	v_sub_f32_e32 v11, v25, v26
	v_sub_f32_e32 v4, v5, v27
	v_add_f32_e32 v5, v26, v25
	v_add3_u32 v20, 0, v20, v21
	v_cmp_gt_u32_e64 s[0:1], 63, v52
	ds_write2_b64 v20, v[8:9], v[10:11] offset1:9
	ds_write2_b64 v20, v[12:13], v[14:15] offset0:18 offset1:27
	ds_write2_b64 v20, v[16:17], v[18:19] offset0:36 offset1:45
	ds_write_b64 v20, v[4:5] offset:432
	s_waitcnt lgkmcnt(0)
	s_barrier
	s_waitcnt lgkmcnt(0)
                                        ; implicit-def: $vgpr23
	s_and_saveexec_b64 s[2:3], s[0:1]
	s_cbranch_execnz .LBB0_16
; %bb.14:
	s_or_b64 exec, exec, s[2:3]
	s_and_b64 s[0:1], vcc, s[0:1]
	s_and_saveexec_b64 s[2:3], s[0:1]
	s_cbranch_execnz .LBB0_17
.LBB0_15:
	s_endpgm
.LBB0_16:
	ds_read2_b64 v[8:11], v24 offset1:63
	ds_read2_b64 v[12:15], v24 offset0:126 offset1:189
	ds_read2_b64 v[16:19], v3 offset0:124 offset1:187
	v_add_u32_e32 v0, 0x800, v24
	v_add_u32_e32 v20, 0x1000, v24
	ds_read2_b64 v[4:7], v0 offset0:122 offset1:185
	ds_read2_b64 v[0:3], v2 offset0:120 offset1:183
	ds_read2_b64 v[20:23], v20 offset0:118 offset1:181
	ds_read_b64 v[50:51], v24 offset:6048
	s_or_b64 exec, exec, s[2:3]
	s_and_b64 s[0:1], vcc, s[0:1]
	s_and_saveexec_b64 s[2:3], s[0:1]
	s_cbranch_execz .LBB0_15
.LBB0_17:
	v_mul_u32_u24_e32 v24, 12, v52
	v_lshlrev_b32_e32 v53, 3, v24
	global_load_dwordx4 v[24:27], v53, s[8:9] offset:512
	global_load_dwordx4 v[28:31], v53, s[8:9] offset:496
	global_load_dwordx4 v[32:35], v53, s[8:9] offset:480
	global_load_dwordx4 v[36:39], v53, s[8:9] offset:464
	global_load_dwordx4 v[44:47], v53, s[8:9] offset:448
	global_load_dwordx4 v[40:43], v53, s[8:9] offset:432
	s_mov_b32 s0, 0xbf788fa5
	s_mov_b32 s5, 0x3f62ad3f
	;; [unrolled: 1-line block ×6, first 2 shown]
	s_waitcnt vmcnt(5) lgkmcnt(0)
	v_mul_f32_e32 v53, v50, v27
	v_mul_f32_e32 v27, v51, v27
	s_waitcnt vmcnt(3)
	v_mul_f32_e32 v57, v0, v35
	v_mul_f32_e32 v35, v1, v35
	;; [unrolled: 1-line block ×3, first 2 shown]
	s_waitcnt vmcnt(0)
	v_mul_f32_e32 v64, v10, v41
	v_mul_f32_e32 v25, v23, v25
	v_fma_f32 v51, v51, v26, -v53
	v_fmac_f32_e32 v35, v0, v34
	v_fma_f32 v0, v11, v40, -v64
	v_mul_f32_e32 v55, v20, v31
	v_mul_f32_e32 v31, v21, v31
	v_mul_f32_e32 v56, v2, v29
	v_mul_f32_e32 v29, v3, v29
	v_mul_f32_e32 v58, v6, v33
	v_mul_f32_e32 v33, v7, v33
	v_mul_f32_e32 v59, v4, v39
	v_mul_f32_e32 v39, v5, v39
	v_mul_f32_e32 v41, v11, v41
	v_fmac_f32_e32 v25, v22, v24
	v_fma_f32 v22, v1, v34, -v57
	v_add_f32_e32 v1, v51, v0
	v_mul_f32_e32 v60, v18, v37
	v_mul_f32_e32 v37, v19, v37
	;; [unrolled: 1-line block ×8, first 2 shown]
	v_fmac_f32_e32 v27, v50, v26
	v_fma_f32 v23, v23, v24, -v54
	v_fmac_f32_e32 v31, v20, v30
	v_fma_f32 v20, v3, v28, -v56
	v_fmac_f32_e32 v29, v2, v28
	v_fma_f32 v24, v7, v32, -v58
	v_fmac_f32_e32 v33, v6, v32
	v_fma_f32 v26, v5, v38, -v59
	v_fmac_f32_e32 v39, v4, v38
	v_fmac_f32_e32 v41, v10, v40
	v_mul_f32_e32 v3, 0xbf788fa5, v1
	v_mul_f32_e32 v4, 0xbf3f9e67, v1
	;; [unrolled: 1-line block ×6, first 2 shown]
	v_sub_f32_e32 v28, v0, v51
	v_fma_f32 v21, v21, v30, -v55
	v_fmac_f32_e32 v37, v18, v36
	v_fma_f32 v17, v17, v46, -v61
	v_fmac_f32_e32 v47, v16, v46
	v_fmac_f32_e32 v45, v14, v44
	v_fma_f32 v13, v13, v42, -v63
	v_fmac_f32_e32 v43, v12, v42
	v_sub_f32_e32 v2, v41, v27
	v_mov_b32_e32 v10, v3
	v_mov_b32_e32 v11, v4
	;; [unrolled: 1-line block ×6, first 2 shown]
	v_mul_f32_e32 v30, 0xbe750f2a, v28
	v_mul_f32_e32 v34, 0xbf29c268, v28
	;; [unrolled: 1-line block ×6, first 2 shown]
	v_fma_f32 v19, v19, v36, -v60
	v_fma_f32 v15, v15, v44, -v62
	v_fmac_f32_e32 v3, 0xbe750f2a, v2
	v_fmac_f32_e32 v4, 0xbf29c268, v2
	;; [unrolled: 1-line block ×12, first 2 shown]
	v_add_f32_e32 v2, v27, v41
	v_mov_b32_e32 v32, v30
	v_mov_b32_e32 v36, v34
	v_mov_b32_e32 v40, v38
	v_mov_b32_e32 v44, v42
	v_mov_b32_e32 v50, v46
	v_mov_b32_e32 v53, v28
	v_add_f32_e32 v61, v23, v13
	v_fmac_f32_e32 v32, 0xbf788fa5, v2
	v_fmac_f32_e32 v36, 0xbf3f9e67, v2
	;; [unrolled: 1-line block ×6, first 2 shown]
	v_mul_f32_e32 v62, 0x3f62ad3f, v61
	v_fma_f32 v30, v2, s0, -v30
	v_fma_f32 v34, v2, s1, -v34
	;; [unrolled: 1-line block ×6, first 2 shown]
	v_add_f32_e32 v28, v8, v32
	v_add_f32_e32 v32, v8, v36
	;; [unrolled: 1-line block ×7, first 2 shown]
	v_sub_f32_e32 v63, v43, v25
	v_mov_b32_e32 v0, v62
	v_add_f32_e32 v10, v9, v10
	v_fmac_f32_e32 v0, 0xbeedf032, v63
	v_add_f32_e32 v0, v10, v0
	v_add_f32_e32 v10, v21, v15
	v_mul_f32_e32 v64, 0xbf3f9e67, v10
	v_add_f32_e32 v59, v9, v1
	v_sub_f32_e32 v65, v45, v31
	v_mov_b32_e32 v1, v64
	v_add_f32_e32 v66, v20, v17
	v_fmac_f32_e32 v1, 0x3f29c268, v65
	v_mul_f32_e32 v67, 0x3f116cb1, v66
	v_add_f32_e32 v0, v0, v1
	v_sub_f32_e32 v68, v47, v29
	v_mov_b32_e32 v1, v67
	v_add_f32_e32 v69, v22, v19
	v_fmac_f32_e32 v1, 0xbf52af12, v68
	v_mul_f32_e32 v70, 0xbeb58ec6, v69
	v_add_f32_e32 v0, v0, v1
	v_sub_f32_e32 v71, v37, v35
	v_mov_b32_e32 v1, v70
	v_sub_f32_e32 v73, v13, v23
	v_fmac_f32_e32 v1, 0x3f6f5d39, v71
	v_mul_f32_e32 v74, 0x3eedf032, v73
	v_add_f32_e32 v0, v0, v1
	v_add_f32_e32 v72, v25, v43
	v_mov_b32_e32 v1, v74
	v_sub_f32_e32 v75, v15, v21
	v_fmac_f32_e32 v1, 0x3f62ad3f, v72
	v_mul_f32_e32 v76, 0xbf29c268, v75
	v_add_f32_e32 v60, v8, v2
	v_add_f32_e32 v1, v28, v1
	;; [unrolled: 1-line block ×3, first 2 shown]
	v_mov_b32_e32 v2, v76
	v_sub_f32_e32 v78, v17, v20
	v_fmac_f32_e32 v2, 0xbf3f9e67, v28
	v_mul_f32_e32 v79, 0x3f52af12, v78
	v_add_f32_e32 v1, v1, v2
	v_add_f32_e32 v77, v29, v47
	v_mov_b32_e32 v2, v79
	v_sub_f32_e32 v81, v19, v22
	v_fmac_f32_e32 v2, 0x3f116cb1, v77
	v_mul_f32_e32 v82, 0xbf6f5d39, v81
	v_add_f32_e32 v1, v1, v2
	v_add_f32_e32 v80, v35, v37
	v_mov_b32_e32 v2, v82
	v_add_f32_e32 v83, v24, v26
	v_fmac_f32_e32 v2, 0xbeb58ec6, v80
	v_mul_f32_e32 v84, 0x3df6dbef, v83
	v_add_f32_e32 v2, v1, v2
	v_sub_f32_e32 v85, v39, v33
	v_mov_b32_e32 v1, v84
	v_sub_f32_e32 v87, v26, v24
	v_fmac_f32_e32 v1, 0xbf7e222b, v85
	v_mul_f32_e32 v88, 0x3f7e222b, v87
	v_add_f32_e32 v1, v0, v1
	v_add_f32_e32 v86, v33, v39
	v_mov_b32_e32 v0, v88
	v_fmac_f32_e32 v0, 0x3df6dbef, v86
	v_mul_f32_e32 v89, 0x3df6dbef, v61
	v_add_f32_e32 v0, v2, v0
	v_mov_b32_e32 v2, v89
	v_mul_f32_e32 v90, 0x3f116cb1, v10
	v_add_f32_e32 v11, v9, v11
	v_add_f32_e32 v54, v9, v3
	v_fmac_f32_e32 v2, 0xbf7e222b, v63
	v_mov_b32_e32 v3, v90
	v_add_f32_e32 v2, v11, v2
	v_fmac_f32_e32 v3, 0x3f52af12, v65
	v_mul_f32_e32 v91, 0xbf788fa5, v66
	v_add_f32_e32 v2, v2, v3
	v_mov_b32_e32 v3, v91
	v_fmac_f32_e32 v3, 0xbe750f2a, v68
	v_mul_f32_e32 v92, 0x3f62ad3f, v69
	v_add_f32_e32 v2, v2, v3
	v_mov_b32_e32 v3, v92
	;; [unrolled: 4-line block ×3, first 2 shown]
	v_fmac_f32_e32 v3, 0x3df6dbef, v72
	v_add_f32_e32 v3, v32, v3
	v_mul_f32_e32 v32, 0xbf52af12, v75
	v_add_f32_e32 v55, v9, v4
	v_mov_b32_e32 v4, v32
	v_fmac_f32_e32 v4, 0x3f116cb1, v28
	v_mul_f32_e32 v94, 0x3e750f2a, v78
	v_add_f32_e32 v3, v3, v4
	v_mov_b32_e32 v4, v94
	v_fmac_f32_e32 v4, 0xbf788fa5, v77
	;; [unrolled: 4-line block ×5, first 2 shown]
	v_mul_f32_e32 v98, 0xbf3f9e67, v61
	v_add_f32_e32 v2, v4, v2
	v_mov_b32_e32 v4, v98
	v_mul_f32_e32 v99, 0x3f62ad3f, v10
	v_add_f32_e32 v12, v9, v12
	v_add_f32_e32 v56, v9, v5
	v_fmac_f32_e32 v4, 0xbf29c268, v63
	v_mov_b32_e32 v5, v99
	v_add_f32_e32 v4, v12, v4
	v_fmac_f32_e32 v5, 0xbeedf032, v65
	v_mul_f32_e32 v100, 0x3df6dbef, v66
	v_add_f32_e32 v4, v4, v5
	v_mov_b32_e32 v5, v100
	v_fmac_f32_e32 v5, 0x3f7e222b, v68
	v_mul_f32_e32 v101, 0xbf788fa5, v69
	v_add_f32_e32 v4, v4, v5
	v_mov_b32_e32 v5, v101
	v_fmac_f32_e32 v5, 0xbe750f2a, v71
	v_mul_f32_e32 v102, 0x3f29c268, v73
	v_add_f32_e32 v4, v4, v5
	v_mov_b32_e32 v5, v102
	v_fmac_f32_e32 v5, 0xbf3f9e67, v72
	v_add_f32_e32 v5, v36, v5
	v_mul_f32_e32 v36, 0x3eedf032, v75
	v_add_f32_e32 v57, v9, v6
	v_mov_b32_e32 v6, v36
	v_fmac_f32_e32 v6, 0x3f62ad3f, v28
	v_mul_f32_e32 v103, 0xbf7e222b, v78
	v_add_f32_e32 v5, v5, v6
	v_mov_b32_e32 v6, v103
	v_fmac_f32_e32 v6, 0x3df6dbef, v77
	;; [unrolled: 4-line block ×5, first 2 shown]
	v_mul_f32_e32 v107, 0xbf788fa5, v61
	v_add_f32_e32 v4, v6, v4
	v_mov_b32_e32 v6, v107
	v_mul_f32_e32 v108, 0xbeb58ec6, v10
	v_add_f32_e32 v14, v9, v14
	v_add_f32_e32 v58, v9, v7
	v_fmac_f32_e32 v6, 0x3e750f2a, v63
	v_mov_b32_e32 v7, v108
	v_add_f32_e32 v6, v14, v6
	v_fmac_f32_e32 v7, 0xbf6f5d39, v65
	v_mul_f32_e32 v109, 0x3f62ad3f, v66
	v_add_f32_e32 v6, v6, v7
	v_mov_b32_e32 v7, v109
	v_fmac_f32_e32 v7, 0xbeedf032, v68
	v_mul_f32_e32 v110, 0x3f116cb1, v69
	v_add_f32_e32 v6, v6, v7
	v_mov_b32_e32 v7, v110
	;; [unrolled: 4-line block ×3, first 2 shown]
	v_fmac_f32_e32 v7, 0xbf788fa5, v72
	v_add_f32_e32 v7, v40, v7
	v_mul_f32_e32 v40, 0x3f6f5d39, v75
	v_add_f32_e32 v41, v8, v41
	v_add_f32_e32 v30, v8, v30
	v_add_f32_e32 v34, v8, v34
	v_add_f32_e32 v38, v8, v38
	v_add_f32_e32 v42, v8, v42
	v_add_f32_e32 v46, v8, v46
	v_mov_b32_e32 v8, v40
	v_fmac_f32_e32 v8, 0xbeb58ec6, v28
	v_mul_f32_e32 v112, 0x3eedf032, v78
	v_add_f32_e32 v7, v7, v8
	v_mov_b32_e32 v8, v112
	v_fmac_f32_e32 v8, 0x3f62ad3f, v77
	v_mul_f32_e32 v113, 0xbf52af12, v81
	v_add_f32_e32 v7, v7, v8
	;; [unrolled: 4-line block ×5, first 2 shown]
	v_mov_b32_e32 v8, v116
	v_mul_f32_e32 v117, 0xbf788fa5, v10
	v_add_f32_e32 v16, v9, v16
	v_add_f32_e32 v18, v9, v18
	v_fmac_f32_e32 v8, 0x3f6f5d39, v63
	v_mov_b32_e32 v9, v117
	v_add_f32_e32 v8, v16, v8
	v_fmac_f32_e32 v9, 0x3e750f2a, v65
	v_mul_f32_e32 v118, 0xbf3f9e67, v66
	v_add_f32_e32 v8, v8, v9
	v_mov_b32_e32 v9, v118
	v_fmac_f32_e32 v9, 0xbf29c268, v68
	v_mul_f32_e32 v119, 0x3df6dbef, v69
	v_add_f32_e32 v8, v8, v9
	v_mov_b32_e32 v9, v119
	;; [unrolled: 4-line block ×3, first 2 shown]
	v_fmac_f32_e32 v9, 0xbeb58ec6, v72
	v_add_f32_e32 v9, v44, v9
	v_mul_f32_e32 v44, 0xbe750f2a, v75
	v_mov_b32_e32 v11, v44
	v_fmac_f32_e32 v11, 0xbf788fa5, v28
	v_mul_f32_e32 v121, 0x3f29c268, v78
	v_add_f32_e32 v9, v9, v11
	v_mov_b32_e32 v11, v121
	v_fmac_f32_e32 v11, 0xbf3f9e67, v77
	v_mul_f32_e32 v122, 0x3f7e222b, v81
	v_add_f32_e32 v9, v9, v11
	;; [unrolled: 4-line block ×5, first 2 shown]
	v_mov_b32_e32 v11, v61
	v_mul_f32_e32 v125, 0x3df6dbef, v10
	v_fmac_f32_e32 v11, 0x3f52af12, v63
	v_mov_b32_e32 v10, v125
	v_add_f32_e32 v11, v18, v11
	v_fmac_f32_e32 v10, 0x3f7e222b, v65
	v_mul_f32_e32 v66, 0xbeb58ec6, v66
	v_add_f32_e32 v10, v11, v10
	v_mov_b32_e32 v11, v66
	v_fmac_f32_e32 v11, 0x3f6f5d39, v68
	v_mul_f32_e32 v69, 0xbf3f9e67, v69
	v_add_f32_e32 v10, v10, v11
	v_mov_b32_e32 v11, v69
	;; [unrolled: 4-line block ×3, first 2 shown]
	v_fmac_f32_e32 v11, 0x3f116cb1, v72
	v_add_f32_e32 v11, v50, v11
	v_mul_f32_e32 v50, 0xbf7e222b, v75
	v_mov_b32_e32 v12, v50
	v_fmac_f32_e32 v12, 0x3df6dbef, v28
	v_mul_f32_e32 v75, 0xbf6f5d39, v78
	v_add_f32_e32 v11, v11, v12
	v_mov_b32_e32 v12, v75
	v_fmac_f32_e32 v12, 0xbeb58ec6, v77
	v_mul_f32_e32 v78, 0xbf29c268, v81
	v_add_f32_e32 v11, v11, v12
	;; [unrolled: 4-line block ×4, first 2 shown]
	v_mov_b32_e32 v10, v83
	v_fmac_f32_e32 v10, 0xbf788fa5, v86
	v_add_f32_e32 v10, v12, v10
	v_add_f32_e32 v12, v53, v13
	;; [unrolled: 1-line block ×21, first 2 shown]
	v_fmac_f32_e32 v62, 0x3eedf032, v63
	v_add_f32_e32 v13, v51, v12
	v_add_f32_e32 v12, v27, v14
	;; [unrolled: 1-line block ×3, first 2 shown]
	v_fmac_f32_e32 v64, 0xbf29c268, v65
	v_fma_f32 v15, v72, s5, -v74
	v_add_f32_e32 v14, v14, v64
	v_fmac_f32_e32 v67, 0x3f52af12, v68
	v_add_f32_e32 v15, v30, v15
	v_fma_f32 v16, v28, s1, -v76
	v_add_f32_e32 v14, v14, v67
	v_fmac_f32_e32 v70, 0xbf6f5d39, v71
	v_add_f32_e32 v15, v15, v16
	v_fma_f32 v16, v77, s3, -v79
	v_add_f32_e32 v14, v14, v70
	v_add_f32_e32 v15, v15, v16
	v_fma_f32 v16, v80, s2, -v82
	v_fmac_f32_e32 v84, 0x3f7e222b, v85
	v_add_f32_e32 v16, v15, v16
	v_add_f32_e32 v15, v14, v84
	v_fma_f32 v14, v86, s4, -v88
	v_fmac_f32_e32 v89, 0x3f7e222b, v63
	v_add_f32_e32 v14, v16, v14
	v_add_f32_e32 v16, v55, v89
	v_fmac_f32_e32 v90, 0xbf52af12, v65
	v_fma_f32 v17, v72, s4, -v93
	v_add_f32_e32 v16, v16, v90
	v_fmac_f32_e32 v91, 0x3e750f2a, v68
	v_add_f32_e32 v17, v34, v17
	v_fma_f32 v18, v28, s3, -v32
	v_add_f32_e32 v16, v16, v91
	v_fmac_f32_e32 v92, 0x3eedf032, v71
	v_add_f32_e32 v17, v17, v18
	v_fma_f32 v18, v77, s0, -v94
	v_add_f32_e32 v16, v16, v92
	v_add_f32_e32 v17, v17, v18
	v_fma_f32 v18, v80, s5, -v95
	v_fmac_f32_e32 v96, 0xbf6f5d39, v85
	v_add_f32_e32 v18, v17, v18
	v_add_f32_e32 v17, v16, v96
	v_fma_f32 v16, v86, s2, -v97
	v_fmac_f32_e32 v98, 0x3f29c268, v63
	v_add_f32_e32 v16, v18, v16
	v_add_f32_e32 v18, v56, v98
	;; [unrolled: 20-line block ×5, first 2 shown]
	v_fmac_f32_e32 v125, 0xbf7e222b, v65
	v_add_f32_e32 v24, v24, v125
	v_fmac_f32_e32 v66, 0xbf6f5d39, v68
	v_add_f32_e32 v24, v24, v66
	;; [unrolled: 2-line block ×3, first 2 shown]
	v_fma_f32 v24, v72, s3, -v73
	v_add_f32_e32 v26, v60, v24
	v_fma_f32 v27, v28, s4, -v50
	v_mad_u64_u32 v[24:25], s[4:5], s12, v52, 0
	v_add_f32_e32 v26, v26, v27
	v_fma_f32 v27, v77, s2, -v75
	v_add_f32_e32 v27, v26, v27
	v_mad_u64_u32 v[25:26], s[2:3], s13, v52, v[25:26]
	v_fma_f32 v26, v80, s1, -v78
	v_add_f32_e32 v28, v27, v26
	v_mov_b32_e32 v26, s15
	v_add_co_u32_e32 v31, vcc, s14, v48
	v_add_u32_e32 v33, 63, v52
	v_fma_f32 v30, v86, s0, -v83
	v_addc_co_u32_e32 v32, vcc, v26, v49, vcc
	v_lshlrev_b64 v[24:25], 3, v[24:25]
	v_mad_u64_u32 v[26:27], s[0:1], s12, v33, 0
	v_add_co_u32_e32 v24, vcc, v31, v24
	v_addc_co_u32_e32 v25, vcc, v32, v25, vcc
	global_store_dwordx2 v[24:25], v[12:13], off
	v_mov_b32_e32 v12, v27
	v_mad_u64_u32 v[12:13], s[0:1], s13, v33, v[12:13]
	v_add_u32_e32 v33, 0x7e, v52
	v_mad_u64_u32 v[24:25], s[0:1], s12, v33, 0
	v_mov_b32_e32 v27, v12
	v_lshlrev_b64 v[12:13], 3, v[26:27]
	v_mad_u64_u32 v[25:26], s[0:1], s13, v33, v[25:26]
	v_add_co_u32_e32 v12, vcc, v31, v12
	v_addc_co_u32_e32 v13, vcc, v32, v13, vcc
	global_store_dwordx2 v[12:13], v[10:11], off
	v_lshlrev_b64 v[10:11], 3, v[24:25]
	v_add_u32_e32 v24, 0xbd, v52
	v_mad_u64_u32 v[12:13], s[0:1], s12, v24, 0
	v_add_u32_e32 v27, 0xfc, v52
	v_add_co_u32_e32 v10, vcc, v31, v10
	v_mad_u64_u32 v[24:25], s[0:1], s13, v24, v[13:14]
	v_mad_u64_u32 v[25:26], s[0:1], s12, v27, 0
	v_addc_co_u32_e32 v11, vcc, v32, v11, vcc
	global_store_dwordx2 v[10:11], v[8:9], off
	v_mov_b32_e32 v10, v26
	v_mov_b32_e32 v13, v24
	v_mad_u64_u32 v[10:11], s[0:1], s13, v27, v[10:11]
	v_lshlrev_b64 v[8:9], 3, v[12:13]
	v_add_u32_e32 v12, 0x17a, v52
	v_add_co_u32_e32 v8, vcc, v31, v8
	v_addc_co_u32_e32 v9, vcc, v32, v9, vcc
	v_mov_b32_e32 v26, v10
	v_add_u32_e32 v10, 0x13b, v52
	global_store_dwordx2 v[8:9], v[6:7], off
	v_mad_u64_u32 v[8:9], s[0:1], s12, v10, 0
	v_lshlrev_b64 v[6:7], 3, v[25:26]
	v_fmac_f32_e32 v81, 0xbe750f2a, v85
	v_mad_u64_u32 v[9:10], s[0:1], s13, v10, v[9:10]
	v_mad_u64_u32 v[10:11], s[0:1], s12, v12, 0
	v_add_co_u32_e32 v6, vcc, v31, v6
	v_addc_co_u32_e32 v7, vcc, v32, v7, vcc
	global_store_dwordx2 v[6:7], v[4:5], off
	v_mov_b32_e32 v6, v11
	v_mad_u64_u32 v[6:7], s[0:1], s13, v12, v[6:7]
	v_lshlrev_b64 v[4:5], 3, v[8:9]
	v_add_u32_e32 v8, 0x1f8, v52
	v_add_co_u32_e32 v4, vcc, v31, v4
	v_addc_co_u32_e32 v5, vcc, v32, v5, vcc
	v_mov_b32_e32 v11, v6
	v_add_u32_e32 v6, 0x1b9, v52
	global_store_dwordx2 v[4:5], v[2:3], off
	v_mad_u64_u32 v[4:5], s[0:1], s12, v6, 0
	v_lshlrev_b64 v[2:3], 3, v[10:11]
	v_add_f32_e32 v29, v29, v81
	v_mad_u64_u32 v[5:6], s[0:1], s13, v6, v[5:6]
	v_mad_u64_u32 v[6:7], s[0:1], s12, v8, 0
	v_add_co_u32_e32 v2, vcc, v31, v2
	v_addc_co_u32_e32 v3, vcc, v32, v3, vcc
	global_store_dwordx2 v[2:3], v[0:1], off
	v_mov_b32_e32 v2, v7
	v_mad_u64_u32 v[2:3], s[0:1], s13, v8, v[2:3]
	v_lshlrev_b64 v[0:1], 3, v[4:5]
	v_add_u32_e32 v4, 0x237, v52
	v_mov_b32_e32 v7, v2
	v_mad_u64_u32 v[2:3], s[0:1], s12, v4, 0
	v_add_co_u32_e32 v0, vcc, v31, v0
	v_addc_co_u32_e32 v1, vcc, v32, v1, vcc
	global_store_dwordx2 v[0:1], v[14:15], off
	v_lshlrev_b64 v[0:1], 3, v[6:7]
	v_mad_u64_u32 v[3:4], s[0:1], s13, v4, v[3:4]
	v_add_u32_e32 v6, 0x276, v52
	v_mad_u64_u32 v[4:5], s[0:1], s12, v6, 0
	v_add_co_u32_e32 v0, vcc, v31, v0
	v_addc_co_u32_e32 v1, vcc, v32, v1, vcc
	global_store_dwordx2 v[0:1], v[16:17], off
	v_lshlrev_b64 v[0:1], 3, v[2:3]
	v_mov_b32_e32 v2, v5
	v_mad_u64_u32 v[2:3], s[0:1], s13, v6, v[2:3]
	v_add_co_u32_e32 v0, vcc, v31, v0
	v_addc_co_u32_e32 v1, vcc, v32, v1, vcc
	v_mov_b32_e32 v5, v2
	global_store_dwordx2 v[0:1], v[18:19], off
	v_lshlrev_b64 v[0:1], 3, v[4:5]
	v_add_u32_e32 v4, 0x2b5, v52
	v_mad_u64_u32 v[2:3], s[0:1], s12, v4, 0
	v_add_u32_e32 v6, 0x2f4, v52
	v_add_co_u32_e32 v0, vcc, v31, v0
	v_mad_u64_u32 v[3:4], s[0:1], s13, v4, v[3:4]
	v_mad_u64_u32 v[4:5], s[0:1], s12, v6, 0
	v_addc_co_u32_e32 v1, vcc, v32, v1, vcc
	global_store_dwordx2 v[0:1], v[20:21], off
	v_lshlrev_b64 v[0:1], 3, v[2:3]
	v_mov_b32_e32 v2, v5
	v_mad_u64_u32 v[2:3], s[0:1], s13, v6, v[2:3]
	v_add_co_u32_e32 v0, vcc, v31, v0
	v_addc_co_u32_e32 v1, vcc, v32, v1, vcc
	v_mov_b32_e32 v5, v2
	global_store_dwordx2 v[0:1], v[22:23], off
	v_lshlrev_b64 v[0:1], 3, v[4:5]
	v_add_f32_e32 v28, v28, v30
	v_add_co_u32_e32 v0, vcc, v31, v0
	v_addc_co_u32_e32 v1, vcc, v32, v1, vcc
	global_store_dwordx2 v[0:1], v[28:29], off
	s_endpgm
	.section	.rodata,"a",@progbits
	.p2align	6, 0x0
	.amdhsa_kernel fft_rtc_back_len819_factors_9_7_13_wgs_117_tpt_117_sp_ip_CI_sbrr_dirReg
		.amdhsa_group_segment_fixed_size 0
		.amdhsa_private_segment_fixed_size 0
		.amdhsa_kernarg_size 88
		.amdhsa_user_sgpr_count 6
		.amdhsa_user_sgpr_private_segment_buffer 1
		.amdhsa_user_sgpr_dispatch_ptr 0
		.amdhsa_user_sgpr_queue_ptr 0
		.amdhsa_user_sgpr_kernarg_segment_ptr 1
		.amdhsa_user_sgpr_dispatch_id 0
		.amdhsa_user_sgpr_flat_scratch_init 0
		.amdhsa_user_sgpr_private_segment_size 0
		.amdhsa_uses_dynamic_stack 0
		.amdhsa_system_sgpr_private_segment_wavefront_offset 0
		.amdhsa_system_sgpr_workgroup_id_x 1
		.amdhsa_system_sgpr_workgroup_id_y 0
		.amdhsa_system_sgpr_workgroup_id_z 0
		.amdhsa_system_sgpr_workgroup_info 0
		.amdhsa_system_vgpr_workitem_id 0
		.amdhsa_next_free_vgpr 126
		.amdhsa_next_free_sgpr 24
		.amdhsa_reserve_vcc 1
		.amdhsa_reserve_flat_scratch 0
		.amdhsa_float_round_mode_32 0
		.amdhsa_float_round_mode_16_64 0
		.amdhsa_float_denorm_mode_32 3
		.amdhsa_float_denorm_mode_16_64 3
		.amdhsa_dx10_clamp 1
		.amdhsa_ieee_mode 1
		.amdhsa_fp16_overflow 0
		.amdhsa_exception_fp_ieee_invalid_op 0
		.amdhsa_exception_fp_denorm_src 0
		.amdhsa_exception_fp_ieee_div_zero 0
		.amdhsa_exception_fp_ieee_overflow 0
		.amdhsa_exception_fp_ieee_underflow 0
		.amdhsa_exception_fp_ieee_inexact 0
		.amdhsa_exception_int_div_zero 0
	.end_amdhsa_kernel
	.text
.Lfunc_end0:
	.size	fft_rtc_back_len819_factors_9_7_13_wgs_117_tpt_117_sp_ip_CI_sbrr_dirReg, .Lfunc_end0-fft_rtc_back_len819_factors_9_7_13_wgs_117_tpt_117_sp_ip_CI_sbrr_dirReg
                                        ; -- End function
	.section	.AMDGPU.csdata,"",@progbits
; Kernel info:
; codeLenInByte = 7252
; NumSgprs: 28
; NumVgprs: 126
; ScratchSize: 0
; MemoryBound: 0
; FloatMode: 240
; IeeeMode: 1
; LDSByteSize: 0 bytes/workgroup (compile time only)
; SGPRBlocks: 3
; VGPRBlocks: 31
; NumSGPRsForWavesPerEU: 28
; NumVGPRsForWavesPerEU: 126
; Occupancy: 2
; WaveLimiterHint : 1
; COMPUTE_PGM_RSRC2:SCRATCH_EN: 0
; COMPUTE_PGM_RSRC2:USER_SGPR: 6
; COMPUTE_PGM_RSRC2:TRAP_HANDLER: 0
; COMPUTE_PGM_RSRC2:TGID_X_EN: 1
; COMPUTE_PGM_RSRC2:TGID_Y_EN: 0
; COMPUTE_PGM_RSRC2:TGID_Z_EN: 0
; COMPUTE_PGM_RSRC2:TIDIG_COMP_CNT: 0
	.type	__hip_cuid_15555a6a7d7ee1ec,@object ; @__hip_cuid_15555a6a7d7ee1ec
	.section	.bss,"aw",@nobits
	.globl	__hip_cuid_15555a6a7d7ee1ec
__hip_cuid_15555a6a7d7ee1ec:
	.byte	0                               ; 0x0
	.size	__hip_cuid_15555a6a7d7ee1ec, 1

	.ident	"AMD clang version 19.0.0git (https://github.com/RadeonOpenCompute/llvm-project roc-6.4.0 25133 c7fe45cf4b819c5991fe208aaa96edf142730f1d)"
	.section	".note.GNU-stack","",@progbits
	.addrsig
	.addrsig_sym __hip_cuid_15555a6a7d7ee1ec
	.amdgpu_metadata
---
amdhsa.kernels:
  - .args:
      - .actual_access:  read_only
        .address_space:  global
        .offset:         0
        .size:           8
        .value_kind:     global_buffer
      - .offset:         8
        .size:           8
        .value_kind:     by_value
      - .actual_access:  read_only
        .address_space:  global
        .offset:         16
        .size:           8
        .value_kind:     global_buffer
      - .actual_access:  read_only
        .address_space:  global
        .offset:         24
        .size:           8
        .value_kind:     global_buffer
      - .offset:         32
        .size:           8
        .value_kind:     by_value
      - .actual_access:  read_only
        .address_space:  global
        .offset:         40
        .size:           8
        .value_kind:     global_buffer
      - .actual_access:  read_only
        .address_space:  global
        .offset:         48
        .size:           8
        .value_kind:     global_buffer
      - .offset:         56
        .size:           4
        .value_kind:     by_value
      - .actual_access:  read_only
        .address_space:  global
        .offset:         64
        .size:           8
        .value_kind:     global_buffer
      - .actual_access:  read_only
        .address_space:  global
        .offset:         72
        .size:           8
        .value_kind:     global_buffer
      - .address_space:  global
        .offset:         80
        .size:           8
        .value_kind:     global_buffer
    .group_segment_fixed_size: 0
    .kernarg_segment_align: 8
    .kernarg_segment_size: 88
    .language:       OpenCL C
    .language_version:
      - 2
      - 0
    .max_flat_workgroup_size: 117
    .name:           fft_rtc_back_len819_factors_9_7_13_wgs_117_tpt_117_sp_ip_CI_sbrr_dirReg
    .private_segment_fixed_size: 0
    .sgpr_count:     28
    .sgpr_spill_count: 0
    .symbol:         fft_rtc_back_len819_factors_9_7_13_wgs_117_tpt_117_sp_ip_CI_sbrr_dirReg.kd
    .uniform_work_group_size: 1
    .uses_dynamic_stack: false
    .vgpr_count:     126
    .vgpr_spill_count: 0
    .wavefront_size: 64
amdhsa.target:   amdgcn-amd-amdhsa--gfx906
amdhsa.version:
  - 1
  - 2
...

	.end_amdgpu_metadata
